;; amdgpu-corpus repo=ROCm/rocFFT kind=compiled arch=gfx1030 opt=O3
	.text
	.amdgcn_target "amdgcn-amd-amdhsa--gfx1030"
	.amdhsa_code_object_version 6
	.protected	fft_rtc_back_len1750_factors_2_5_5_7_5_wgs_175_tpt_175_halfLds_half_ip_CI_unitstride_sbrr_R2C_dirReg ; -- Begin function fft_rtc_back_len1750_factors_2_5_5_7_5_wgs_175_tpt_175_halfLds_half_ip_CI_unitstride_sbrr_R2C_dirReg
	.globl	fft_rtc_back_len1750_factors_2_5_5_7_5_wgs_175_tpt_175_halfLds_half_ip_CI_unitstride_sbrr_R2C_dirReg
	.p2align	8
	.type	fft_rtc_back_len1750_factors_2_5_5_7_5_wgs_175_tpt_175_halfLds_half_ip_CI_unitstride_sbrr_R2C_dirReg,@function
fft_rtc_back_len1750_factors_2_5_5_7_5_wgs_175_tpt_175_halfLds_half_ip_CI_unitstride_sbrr_R2C_dirReg: ; @fft_rtc_back_len1750_factors_2_5_5_7_5_wgs_175_tpt_175_halfLds_half_ip_CI_unitstride_sbrr_R2C_dirReg
; %bb.0:
	s_clause 0x2
	s_load_dwordx4 s[8:11], s[4:5], 0x0
	s_load_dwordx2 s[2:3], s[4:5], 0x50
	s_load_dwordx2 s[12:13], s[4:5], 0x18
	v_mul_u32_u24_e32 v1, 0x177, v0
	v_mov_b32_e32 v3, 0
	v_add_nc_u32_sdwa v5, s6, v1 dst_sel:DWORD dst_unused:UNUSED_PAD src0_sel:DWORD src1_sel:WORD_1
	v_mov_b32_e32 v1, 0
	v_mov_b32_e32 v6, v3
	v_mov_b32_e32 v2, 0
	s_waitcnt lgkmcnt(0)
	v_cmp_lt_u64_e64 s0, s[10:11], 2
	s_and_b32 vcc_lo, exec_lo, s0
	s_cbranch_vccnz .LBB0_8
; %bb.1:
	s_load_dwordx2 s[0:1], s[4:5], 0x10
	v_mov_b32_e32 v1, 0
	s_add_u32 s6, s12, 8
	v_mov_b32_e32 v2, 0
	s_addc_u32 s7, s13, 0
	s_mov_b64 s[16:17], 1
	s_waitcnt lgkmcnt(0)
	s_add_u32 s14, s0, 8
	s_addc_u32 s15, s1, 0
.LBB0_2:                                ; =>This Inner Loop Header: Depth=1
	s_load_dwordx2 s[18:19], s[14:15], 0x0
                                        ; implicit-def: $vgpr8_vgpr9
	s_mov_b32 s0, exec_lo
	s_waitcnt lgkmcnt(0)
	v_or_b32_e32 v4, s19, v6
	v_cmpx_ne_u64_e32 0, v[3:4]
	s_xor_b32 s1, exec_lo, s0
	s_cbranch_execz .LBB0_4
; %bb.3:                                ;   in Loop: Header=BB0_2 Depth=1
	v_cvt_f32_u32_e32 v4, s18
	v_cvt_f32_u32_e32 v7, s19
	s_sub_u32 s0, 0, s18
	s_subb_u32 s20, 0, s19
	v_fmac_f32_e32 v4, 0x4f800000, v7
	v_rcp_f32_e32 v4, v4
	v_mul_f32_e32 v4, 0x5f7ffffc, v4
	v_mul_f32_e32 v7, 0x2f800000, v4
	v_trunc_f32_e32 v7, v7
	v_fmac_f32_e32 v4, 0xcf800000, v7
	v_cvt_u32_f32_e32 v7, v7
	v_cvt_u32_f32_e32 v4, v4
	v_mul_lo_u32 v8, s0, v7
	v_mul_hi_u32 v9, s0, v4
	v_mul_lo_u32 v10, s20, v4
	v_add_nc_u32_e32 v8, v9, v8
	v_mul_lo_u32 v9, s0, v4
	v_add_nc_u32_e32 v8, v8, v10
	v_mul_hi_u32 v10, v4, v9
	v_mul_lo_u32 v11, v4, v8
	v_mul_hi_u32 v12, v4, v8
	v_mul_hi_u32 v13, v7, v9
	v_mul_lo_u32 v9, v7, v9
	v_mul_hi_u32 v14, v7, v8
	v_mul_lo_u32 v8, v7, v8
	v_add_co_u32 v10, vcc_lo, v10, v11
	v_add_co_ci_u32_e32 v11, vcc_lo, 0, v12, vcc_lo
	v_add_co_u32 v9, vcc_lo, v10, v9
	v_add_co_ci_u32_e32 v9, vcc_lo, v11, v13, vcc_lo
	v_add_co_ci_u32_e32 v10, vcc_lo, 0, v14, vcc_lo
	v_add_co_u32 v8, vcc_lo, v9, v8
	v_add_co_ci_u32_e32 v9, vcc_lo, 0, v10, vcc_lo
	v_add_co_u32 v4, vcc_lo, v4, v8
	v_add_co_ci_u32_e32 v7, vcc_lo, v7, v9, vcc_lo
	v_mul_hi_u32 v8, s0, v4
	v_mul_lo_u32 v10, s20, v4
	v_mul_lo_u32 v9, s0, v7
	v_add_nc_u32_e32 v8, v8, v9
	v_mul_lo_u32 v9, s0, v4
	v_add_nc_u32_e32 v8, v8, v10
	v_mul_hi_u32 v10, v4, v9
	v_mul_lo_u32 v11, v4, v8
	v_mul_hi_u32 v12, v4, v8
	v_mul_hi_u32 v13, v7, v9
	v_mul_lo_u32 v9, v7, v9
	v_mul_hi_u32 v14, v7, v8
	v_mul_lo_u32 v8, v7, v8
	v_add_co_u32 v10, vcc_lo, v10, v11
	v_add_co_ci_u32_e32 v11, vcc_lo, 0, v12, vcc_lo
	v_add_co_u32 v9, vcc_lo, v10, v9
	v_add_co_ci_u32_e32 v9, vcc_lo, v11, v13, vcc_lo
	v_add_co_ci_u32_e32 v10, vcc_lo, 0, v14, vcc_lo
	v_add_co_u32 v8, vcc_lo, v9, v8
	v_add_co_ci_u32_e32 v9, vcc_lo, 0, v10, vcc_lo
	v_add_co_u32 v4, vcc_lo, v4, v8
	v_add_co_ci_u32_e32 v11, vcc_lo, v7, v9, vcc_lo
	v_mul_hi_u32 v13, v5, v4
	v_mad_u64_u32 v[9:10], null, v6, v4, 0
	v_mad_u64_u32 v[7:8], null, v5, v11, 0
	;; [unrolled: 1-line block ×3, first 2 shown]
	v_add_co_u32 v4, vcc_lo, v13, v7
	v_add_co_ci_u32_e32 v7, vcc_lo, 0, v8, vcc_lo
	v_add_co_u32 v4, vcc_lo, v4, v9
	v_add_co_ci_u32_e32 v4, vcc_lo, v7, v10, vcc_lo
	v_add_co_ci_u32_e32 v7, vcc_lo, 0, v12, vcc_lo
	v_add_co_u32 v4, vcc_lo, v4, v11
	v_add_co_ci_u32_e32 v9, vcc_lo, 0, v7, vcc_lo
	v_mul_lo_u32 v10, s19, v4
	v_mad_u64_u32 v[7:8], null, s18, v4, 0
	v_mul_lo_u32 v11, s18, v9
	v_sub_co_u32 v7, vcc_lo, v5, v7
	v_add3_u32 v8, v8, v11, v10
	v_sub_nc_u32_e32 v10, v6, v8
	v_subrev_co_ci_u32_e64 v10, s0, s19, v10, vcc_lo
	v_add_co_u32 v11, s0, v4, 2
	v_add_co_ci_u32_e64 v12, s0, 0, v9, s0
	v_sub_co_u32 v13, s0, v7, s18
	v_sub_co_ci_u32_e32 v8, vcc_lo, v6, v8, vcc_lo
	v_subrev_co_ci_u32_e64 v10, s0, 0, v10, s0
	v_cmp_le_u32_e32 vcc_lo, s18, v13
	v_cmp_eq_u32_e64 s0, s19, v8
	v_cndmask_b32_e64 v13, 0, -1, vcc_lo
	v_cmp_le_u32_e32 vcc_lo, s19, v10
	v_cndmask_b32_e64 v14, 0, -1, vcc_lo
	v_cmp_le_u32_e32 vcc_lo, s18, v7
	;; [unrolled: 2-line block ×3, first 2 shown]
	v_cndmask_b32_e64 v15, 0, -1, vcc_lo
	v_cmp_eq_u32_e32 vcc_lo, s19, v10
	v_cndmask_b32_e64 v7, v15, v7, s0
	v_cndmask_b32_e32 v10, v14, v13, vcc_lo
	v_add_co_u32 v13, vcc_lo, v4, 1
	v_add_co_ci_u32_e32 v14, vcc_lo, 0, v9, vcc_lo
	v_cmp_ne_u32_e32 vcc_lo, 0, v10
	v_cndmask_b32_e32 v8, v14, v12, vcc_lo
	v_cndmask_b32_e32 v10, v13, v11, vcc_lo
	v_cmp_ne_u32_e32 vcc_lo, 0, v7
	v_cndmask_b32_e32 v9, v9, v8, vcc_lo
	v_cndmask_b32_e32 v8, v4, v10, vcc_lo
.LBB0_4:                                ;   in Loop: Header=BB0_2 Depth=1
	s_andn2_saveexec_b32 s0, s1
	s_cbranch_execz .LBB0_6
; %bb.5:                                ;   in Loop: Header=BB0_2 Depth=1
	v_cvt_f32_u32_e32 v4, s18
	s_sub_i32 s1, 0, s18
	v_rcp_iflag_f32_e32 v4, v4
	v_mul_f32_e32 v4, 0x4f7ffffe, v4
	v_cvt_u32_f32_e32 v4, v4
	v_mul_lo_u32 v7, s1, v4
	v_mul_hi_u32 v7, v4, v7
	v_add_nc_u32_e32 v4, v4, v7
	v_mul_hi_u32 v4, v5, v4
	v_mul_lo_u32 v7, v4, s18
	v_add_nc_u32_e32 v8, 1, v4
	v_sub_nc_u32_e32 v7, v5, v7
	v_subrev_nc_u32_e32 v9, s18, v7
	v_cmp_le_u32_e32 vcc_lo, s18, v7
	v_cndmask_b32_e32 v7, v7, v9, vcc_lo
	v_cndmask_b32_e32 v4, v4, v8, vcc_lo
	v_mov_b32_e32 v9, v3
	v_cmp_le_u32_e32 vcc_lo, s18, v7
	v_add_nc_u32_e32 v8, 1, v4
	v_cndmask_b32_e32 v8, v4, v8, vcc_lo
.LBB0_6:                                ;   in Loop: Header=BB0_2 Depth=1
	s_or_b32 exec_lo, exec_lo, s0
	s_load_dwordx2 s[0:1], s[6:7], 0x0
	v_mul_lo_u32 v4, v9, s18
	v_mul_lo_u32 v7, v8, s19
	v_mad_u64_u32 v[10:11], null, v8, s18, 0
	s_add_u32 s16, s16, 1
	s_addc_u32 s17, s17, 0
	s_add_u32 s6, s6, 8
	s_addc_u32 s7, s7, 0
	;; [unrolled: 2-line block ×3, first 2 shown]
	v_add3_u32 v4, v11, v7, v4
	v_sub_co_u32 v5, vcc_lo, v5, v10
	v_sub_co_ci_u32_e32 v4, vcc_lo, v6, v4, vcc_lo
	s_waitcnt lgkmcnt(0)
	v_mul_lo_u32 v6, s1, v5
	v_mul_lo_u32 v4, s0, v4
	v_mad_u64_u32 v[1:2], null, s0, v5, v[1:2]
	v_cmp_ge_u64_e64 s0, s[16:17], s[10:11]
	s_and_b32 vcc_lo, exec_lo, s0
	v_add3_u32 v2, v6, v2, v4
	s_cbranch_vccnz .LBB0_9
; %bb.7:                                ;   in Loop: Header=BB0_2 Depth=1
	v_mov_b32_e32 v5, v8
	v_mov_b32_e32 v6, v9
	s_branch .LBB0_2
.LBB0_8:
	v_mov_b32_e32 v9, v6
	v_mov_b32_e32 v8, v5
.LBB0_9:
	s_lshl_b64 s[0:1], s[10:11], 3
	v_mul_hi_u32 v3, 0x1767dcf, v0
	s_add_u32 s0, s12, s0
	s_addc_u32 s1, s13, s1
	s_load_dwordx2 s[4:5], s[4:5], 0x20
	s_load_dwordx2 s[0:1], s[0:1], 0x0
	v_mul_u32_u24_e32 v3, 0xaf, v3
	v_sub_nc_u32_e32 v0, v0, v3
	v_add_nc_u32_e32 v7, 0x15e, v0
	s_waitcnt lgkmcnt(0)
	v_cmp_gt_u64_e32 vcc_lo, s[4:5], v[8:9]
	v_mul_lo_u32 v5, s0, v9
	v_mul_lo_u32 v6, s1, v8
	v_mad_u64_u32 v[3:4], null, s0, v8, v[1:2]
	v_cmp_le_u64_e64 s0, s[4:5], v[8:9]
	v_add_nc_u32_e32 v2, 0xaf, v0
	v_add3_u32 v4, v6, v4, v5
	v_add_nc_u32_e32 v6, 0x2bc, v0
	s_and_saveexec_b32 s1, s0
	s_xor_b32 s0, exec_lo, s1
; %bb.10:
	v_add_nc_u32_e32 v2, 0xaf, v0
	v_add_nc_u32_e32 v7, 0x15e, v0
	;; [unrolled: 1-line block ×3, first 2 shown]
; %bb.11:
	s_or_saveexec_b32 s1, s0
	v_lshlrev_b64 v[4:5], 2, v[3:4]
	s_xor_b32 exec_lo, exec_lo, s1
	s_cbranch_execz .LBB0_13
; %bb.12:
	v_mov_b32_e32 v1, 0
	v_lshlrev_b64 v[8:9], 2, v[0:1]
	v_add_co_u32 v1, s0, s2, v4
	v_add_co_ci_u32_e64 v3, s0, s3, v5, s0
	v_add_co_u32 v8, s0, v1, v8
	v_add_co_ci_u32_e64 v9, s0, v3, v9, s0
	;; [unrolled: 2-line block ×5, first 2 shown]
	s_clause 0x9
	global_load_dword v1, v[8:9], off
	global_load_dword v3, v[8:9], off offset:700
	global_load_dword v8, v[8:9], off offset:1400
	;; [unrolled: 1-line block ×9, first 2 shown]
	v_lshl_add_u32 v14, v0, 2, 0
	v_add_nc_u32_e32 v15, 0x500, v14
	v_add_nc_u32_e32 v18, 0xa00, v14
	;; [unrolled: 1-line block ×4, first 2 shown]
	s_waitcnt vmcnt(8)
	ds_write2_b32 v14, v1, v3 offset1:175
	s_waitcnt vmcnt(6)
	ds_write2_b32 v15, v8, v9 offset0:30 offset1:205
	s_waitcnt vmcnt(4)
	ds_write2_b32 v18, v16, v10 offset0:60 offset1:235
	;; [unrolled: 2-line block ×4, first 2 shown]
.LBB0_13:
	s_or_b32 exec_lo, exec_lo, s1
	v_lshlrev_b32_e32 v8, 2, v0
	s_waitcnt lgkmcnt(0)
	s_barrier
	buffer_gl0_inv
	v_and_b32_e32 v22, 1, v0
	v_add_nc_u32_e32 v23, 0, v8
	v_and_b32_e32 v24, 1, v2
	v_lshrrev_b32_e32 v38, 1, v2
	v_lshrrev_b32_e32 v39, 1, v0
	v_lshlrev_b32_e32 v21, 4, v22
	v_add_nc_u32_e32 v1, 0xa00, v23
	v_add_nc_u32_e32 v3, 0x1000, v23
	;; [unrolled: 1-line block ×4, first 2 shown]
	ds_read2_b32 v[9:10], v23 offset1:175
	ds_read2_b32 v[11:12], v1 offset0:60 offset1:235
	ds_read2_b32 v[14:15], v3 offset0:26 offset1:201
	;; [unrolled: 1-line block ×4, first 2 shown]
	v_add_nc_u32_e32 v20, v23, v8
	v_lshl_add_u32 v13, v2, 3, 0
	v_lshl_add_u32 v1, v7, 3, 0
	;; [unrolled: 1-line block ×3, first 2 shown]
	s_waitcnt lgkmcnt(0)
	v_add_nc_u32_e32 v25, 0x1068, v20
	s_barrier
	buffer_gl0_inv
	v_add_nc_u32_e32 v30, 0xd00, v23
	v_add_nc_u32_e32 v31, 0x1200, v23
	v_mul_lo_u32 v38, v38, 10
	v_mul_u32_u24_e32 v39, 10, v39
	v_cmp_gt_u32_e64 s0, 0x4b, v0
	v_or_b32_e32 v22, v39, v22
	v_pk_add_f16 v12, v9, v12 neg_lo:[0,1] neg_hi:[0,1]
	v_pk_add_f16 v14, v10, v14 neg_lo:[0,1] neg_hi:[0,1]
	;; [unrolled: 1-line block ×5, first 2 shown]
	v_pk_fma_f16 v9, v9, 2.0, v12 op_sel_hi:[1,0,1] neg_lo:[0,0,1] neg_hi:[0,0,1]
	v_pk_fma_f16 v10, v10, 2.0, v14 op_sel_hi:[1,0,1] neg_lo:[0,0,1] neg_hi:[0,0,1]
	v_pk_fma_f16 v16, v16, 2.0, v15 op_sel_hi:[1,0,1] neg_lo:[0,0,1] neg_hi:[0,0,1]
	v_pk_fma_f16 v17, v17, 2.0, v18 op_sel_hi:[1,0,1] neg_lo:[0,0,1] neg_hi:[0,0,1]
	v_pk_fma_f16 v11, v11, 2.0, v19 op_sel_hi:[1,0,1] neg_lo:[0,0,1] neg_hi:[0,0,1]
	ds_write2_b32 v20, v9, v12 offset1:1
	ds_write2_b32 v13, v10, v14 offset1:1
	;; [unrolled: 1-line block ×5, first 2 shown]
	s_waitcnt lgkmcnt(0)
	s_barrier
	buffer_gl0_inv
	global_load_dwordx4 v[14:17], v21, s[8:9]
	v_lshlrev_b32_e32 v9, 4, v24
	v_lshlrev_b32_e32 v25, 2, v6
	;; [unrolled: 1-line block ×3, first 2 shown]
	v_or_b32_e32 v24, v38, v24
	v_lshl_add_u32 v22, v22, 2, 0
	global_load_dwordx4 v[18:21], v9, s[8:9]
	v_lshlrev_b32_e32 v9, 2, v7
	v_sub_nc_u32_e32 v28, v3, v25
	v_sub_nc_u32_e32 v29, v13, v10
	v_lshl_add_u32 v24, v24, 2, 0
	v_sub_nc_u32_e32 v32, v1, v9
	ds_read_b32 v33, v23
	ds_read_b32 v34, v28
	;; [unrolled: 1-line block ×3, first 2 shown]
	ds_read2_b32 v[11:12], v30 offset0:43 offset1:218
	ds_read2_b32 v[26:27], v31 offset0:73 offset1:248
	ds_read_b32 v36, v23 offset:6300
	ds_read_b32 v37, v32
	ds_read_b32 v40, v23 offset:2100
	s_waitcnt vmcnt(0) lgkmcnt(0)
	s_barrier
	buffer_gl0_inv
	v_lshrrev_b32_e32 v38, 16, v33
	v_lshrrev_b32_e32 v45, 16, v34
	;; [unrolled: 1-line block ×10, first 2 shown]
	v_mul_f16_sdwa v49, v14, v44 dst_sel:DWORD dst_unused:UNUSED_PAD src0_sel:WORD_1 src1_sel:DWORD
	v_mul_f16_sdwa v50, v14, v37 dst_sel:DWORD dst_unused:UNUSED_PAD src0_sel:WORD_1 src1_sel:DWORD
	v_mul_f16_sdwa v51, v15, v45 dst_sel:DWORD dst_unused:UNUSED_PAD src0_sel:WORD_1 src1_sel:DWORD
	v_mul_f16_sdwa v52, v15, v34 dst_sel:DWORD dst_unused:UNUSED_PAD src0_sel:WORD_1 src1_sel:DWORD
	v_mul_f16_sdwa v53, v16, v46 dst_sel:DWORD dst_unused:UNUSED_PAD src0_sel:WORD_1 src1_sel:DWORD
	v_mul_f16_sdwa v54, v16, v12 dst_sel:DWORD dst_unused:UNUSED_PAD src0_sel:WORD_1 src1_sel:DWORD
	v_mul_f16_sdwa v55, v17, v47 dst_sel:DWORD dst_unused:UNUSED_PAD src0_sel:WORD_1 src1_sel:DWORD
	v_fmac_f16_e32 v49, v14, v37
	v_mul_f16_sdwa v37, v17, v27 dst_sel:DWORD dst_unused:UNUSED_PAD src0_sel:WORD_1 src1_sel:DWORD
	v_fma_f16 v14, v14, v44, -v50
	v_mul_f16_sdwa v44, v18, v48 dst_sel:DWORD dst_unused:UNUSED_PAD src0_sel:WORD_1 src1_sel:DWORD
	v_fmac_f16_e32 v51, v15, v34
	v_mul_f16_sdwa v34, v18, v40 dst_sel:DWORD dst_unused:UNUSED_PAD src0_sel:WORD_1 src1_sel:DWORD
	v_fma_f16 v15, v15, v45, -v52
	v_mul_f16_sdwa v45, v41, v19 dst_sel:DWORD dst_unused:UNUSED_PAD src0_sel:DWORD src1_sel:WORD_1
	v_fma_f16 v46, v16, v46, -v54
	v_fma_f16 v37, v17, v47, -v37
	v_mul_f16_sdwa v47, v42, v20 dst_sel:DWORD dst_unused:UNUSED_PAD src0_sel:DWORD src1_sel:WORD_1
	v_fmac_f16_e32 v53, v16, v12
	v_fmac_f16_e32 v55, v17, v27
	v_mul_f16_sdwa v12, v26, v20 dst_sel:DWORD dst_unused:UNUSED_PAD src0_sel:DWORD src1_sel:WORD_1
	v_mul_f16_sdwa v16, v43, v21 dst_sel:DWORD dst_unused:UNUSED_PAD src0_sel:DWORD src1_sel:WORD_1
	;; [unrolled: 1-line block ×4, first 2 shown]
	v_fmac_f16_e32 v44, v18, v40
	v_fma_f16 v18, v18, v48, -v34
	v_fmac_f16_e32 v45, v11, v19
	v_fmac_f16_e32 v47, v26, v20
	v_fma_f16 v12, v42, v20, -v12
	v_fmac_f16_e32 v16, v36, v21
	v_fma_f16 v17, v43, v21, -v17
	v_add_f16_e32 v20, v51, v53
	v_sub_f16_e32 v21, v49, v51
	v_sub_f16_e32 v26, v55, v53
	v_add_f16_e32 v27, v49, v55
	v_sub_f16_e32 v34, v51, v49
	v_sub_f16_e32 v36, v53, v55
	;; [unrolled: 1-line block ×4, first 2 shown]
	v_fma_f16 v11, v41, v19, -v50
	v_add_f16_e32 v19, v33, v49
	v_add_f16_e32 v41, v15, v46
	;; [unrolled: 1-line block ×3, first 2 shown]
	v_sub_f16_e32 v50, v15, v14
	v_sub_f16_e32 v52, v46, v37
	v_add_f16_e32 v21, v21, v26
	v_add_f16_e32 v26, v45, v47
	v_fma_f16 v20, -0.5, v20, v33
	v_fmac_f16_e32 v33, -0.5, v27
	v_sub_f16_e32 v27, v44, v45
	v_add_f16_e32 v34, v34, v36
	v_sub_f16_e32 v36, v16, v47
	v_add_f16_e32 v42, v42, v43
	v_add_f16_e32 v43, v44, v16
	;; [unrolled: 1-line block ×4, first 2 shown]
	v_fma_f16 v41, -0.5, v41, v38
	v_fmac_f16_e32 v38, -0.5, v48
	v_sub_f16_e32 v48, v45, v44
	v_add_f16_e32 v50, v50, v52
	v_sub_f16_e32 v52, v47, v16
	v_add_f16_e32 v36, v27, v36
	v_sub_f16_e32 v27, v18, v11
	v_fma_f16 v26, -0.5, v26, v35
	v_fmac_f16_e32 v35, -0.5, v43
	v_sub_f16_e32 v43, v17, v12
	v_add_f16_e32 v48, v48, v52
	v_add_f16_e32 v52, v11, v12
	v_add_f16_e32 v56, v39, v18
	v_sub_f16_e32 v57, v12, v17
	v_add_f16_e32 v43, v27, v43
	v_add_f16_e32 v27, v18, v17
	v_fma_f16 v52, -0.5, v52, v39
	v_add_f16_e32 v19, v19, v51
	v_sub_f16_e32 v51, v51, v53
	v_sub_f16_e32 v14, v14, v37
	v_fmac_f16_e32 v39, -0.5, v27
	v_sub_f16_e32 v27, v11, v18
	v_add_f16_e32 v19, v19, v53
	v_add_f16_e32 v53, v56, v11
	v_sub_f16_e32 v11, v11, v12
	v_sub_f16_e32 v49, v49, v55
	v_add_f16_e32 v57, v27, v57
	v_add_f16_e32 v27, v40, v15
	v_sub_f16_e32 v15, v15, v46
	v_add_f16_e32 v40, v54, v45
	v_add_f16_e32 v12, v53, v12
	v_fmamk_f16 v53, v14, 0xbb9c, v20
	v_add_f16_e32 v46, v27, v46
	v_and_b32_e32 v27, 0xff, v0
	v_fmac_f16_e32 v20, 0x3b9c, v14
	v_add_f16_e32 v40, v40, v47
	v_fmamk_f16 v54, v15, 0x3b9c, v33
	v_fmac_f16_e32 v33, 0xbb9c, v15
	v_fmac_f16_e32 v53, 0xb8b4, v15
	;; [unrolled: 1-line block ×3, first 2 shown]
	v_mul_lo_u16 v15, 0xcd, v27
	v_sub_f16_e32 v45, v45, v47
	v_mov_b32_e32 v47, 0xcccd
	v_add_f16_e32 v19, v19, v55
	v_sub_f16_e32 v44, v44, v16
	v_lshrrev_b16 v55, 11, v15
	v_sub_f16_e32 v15, v18, v17
	v_add_f16_e32 v18, v46, v37
	v_fmamk_f16 v37, v51, 0xbb9c, v38
	v_fmac_f16_e32 v38, 0x3b9c, v51
	v_add_f16_e32 v16, v40, v16
	v_fmamk_f16 v40, v11, 0x3b9c, v35
	v_fmac_f16_e32 v35, 0xbb9c, v11
	v_mul_u32_u24_sdwa v47, v2, v47 dst_sel:DWORD dst_unused:UNUSED_PAD src0_sel:WORD_0 src1_sel:DWORD
	v_fmac_f16_e32 v54, 0xb8b4, v14
	v_fmac_f16_e32 v33, 0x38b4, v14
	v_fmamk_f16 v14, v49, 0x3b9c, v41
	v_fmac_f16_e32 v41, 0xbb9c, v49
	v_fmac_f16_e32 v37, 0x38b4, v49
	;; [unrolled: 1-line block ×3, first 2 shown]
	v_fmamk_f16 v49, v15, 0xbb9c, v26
	v_fmac_f16_e32 v26, 0x3b9c, v15
	v_fmac_f16_e32 v40, 0xb8b4, v15
	;; [unrolled: 1-line block ×3, first 2 shown]
	v_fmamk_f16 v15, v44, 0x3b9c, v52
	v_add_f16_e32 v12, v12, v17
	v_fmamk_f16 v17, v45, 0xbb9c, v39
	v_fmac_f16_e32 v39, 0x3b9c, v45
	v_lshrrev_b32_e32 v47, 19, v47
	v_fmac_f16_e32 v14, 0x38b4, v51
	v_mul_lo_u16 v46, v55, 10
	v_fmac_f16_e32 v52, 0xbb9c, v44
	v_fmac_f16_e32 v41, 0xb8b4, v51
	;; [unrolled: 1-line block ×7, first 2 shown]
	v_mul_lo_u16 v11, v47, 10
	v_fmac_f16_e32 v52, 0xb8b4, v45
	v_mov_b32_e32 v45, 4
	v_sub_nc_u16 v46, v0, v46
	v_fmac_f16_e32 v53, 0x34f2, v21
	v_fmac_f16_e32 v14, 0x34f2, v42
	v_fmac_f16_e32 v54, 0x34f2, v34
	v_fmac_f16_e32 v33, 0x34f2, v34
	v_fmac_f16_e32 v37, 0x34f2, v50
	v_fmac_f16_e32 v38, 0x34f2, v50
	v_fmac_f16_e32 v20, 0x34f2, v21
	v_fmac_f16_e32 v41, 0x34f2, v42
	v_fmac_f16_e32 v49, 0x34f2, v36
	v_fmac_f16_e32 v15, 0x34f2, v43
	v_fmac_f16_e32 v40, 0x34f2, v48
	v_fmac_f16_e32 v35, 0x34f2, v48
	v_fmac_f16_e32 v17, 0x34f2, v57
	v_fmac_f16_e32 v39, 0x34f2, v57
	v_sub_nc_u16 v51, v2, v11
	v_lshlrev_b32_sdwa v11, v45, v46 dst_sel:DWORD dst_unused:UNUSED_PAD src0_sel:DWORD src1_sel:BYTE_0
	v_fmac_f16_e32 v26, 0x34f2, v36
	v_fmac_f16_e32 v52, 0x34f2, v43
	v_pack_b32_f16 v18, v19, v18
	v_pack_b32_f16 v14, v53, v14
	v_pack_b32_f16 v12, v16, v12
	v_pack_b32_f16 v16, v54, v37
	v_pack_b32_f16 v19, v33, v38
	v_pack_b32_f16 v20, v20, v41
	v_pack_b32_f16 v15, v49, v15
	v_pack_b32_f16 v17, v40, v17
	v_pack_b32_f16 v21, v35, v39
	v_pack_b32_f16 v26, v26, v52
	ds_write2_b32 v22, v18, v14 offset1:2
	ds_write2_b32 v22, v16, v19 offset0:4 offset1:6
	ds_write_b32 v22, v20 offset:32
	ds_write2_b32 v24, v12, v15 offset1:2
	ds_write2_b32 v24, v17, v21 offset0:4 offset1:6
	ds_write_b32 v24, v26 offset:32
	s_waitcnt lgkmcnt(0)
	s_barrier
	buffer_gl0_inv
	global_load_dwordx4 v[14:17], v11, s[8:9] offset:32
	v_lshlrev_b32_sdwa v11, v45, v51 dst_sel:DWORD dst_unused:UNUSED_PAD src0_sel:DWORD src1_sel:WORD_0
	v_mov_b32_e32 v35, 2
	v_mul_u32_u24_e32 v34, 0xc8, v47
	v_mov_b32_e32 v26, 0xc8
	global_load_dwordx4 v[18:21], v11, s[8:9] offset:32
	ds_read_b32 v22, v23
	ds_read_b32 v12, v28
	;; [unrolled: 1-line block ×3, first 2 shown]
	ds_read2_b32 v[28:29], v30 offset0:43 offset1:218
	ds_read2_b32 v[30:31], v31 offset0:73 offset1:248
	ds_read_b32 v24, v23 offset:6300
	ds_read_b32 v32, v32
	ds_read_b32 v33, v23 offset:2100
	v_lshlrev_b32_sdwa v36, v35, v46 dst_sel:DWORD dst_unused:UNUSED_PAD src0_sel:DWORD src1_sel:BYTE_0
	v_lshlrev_b32_sdwa v37, v35, v51 dst_sel:DWORD dst_unused:UNUSED_PAD src0_sel:DWORD src1_sel:WORD_0
	v_mul_u32_u24_sdwa v26, v55, v26 dst_sel:DWORD dst_unused:UNUSED_PAD src0_sel:WORD_0 src1_sel:DWORD
	s_waitcnt vmcnt(0) lgkmcnt(0)
	s_barrier
	buffer_gl0_inv
	v_add3_u32 v34, 0, v34, v37
	v_add3_u32 v36, 0, v26, v36
	v_lshrrev_b32_e32 v37, 16, v22
	v_lshrrev_b32_e32 v42, 16, v12
	;; [unrolled: 1-line block ×10, first 2 shown]
	v_mul_f16_sdwa v46, v14, v41 dst_sel:DWORD dst_unused:UNUSED_PAD src0_sel:WORD_1 src1_sel:DWORD
	v_mul_f16_sdwa v47, v14, v32 dst_sel:DWORD dst_unused:UNUSED_PAD src0_sel:WORD_1 src1_sel:DWORD
	v_mul_f16_sdwa v48, v15, v42 dst_sel:DWORD dst_unused:UNUSED_PAD src0_sel:WORD_1 src1_sel:DWORD
	v_mul_f16_sdwa v49, v15, v12 dst_sel:DWORD dst_unused:UNUSED_PAD src0_sel:WORD_1 src1_sel:DWORD
	v_mul_f16_sdwa v50, v16, v43 dst_sel:DWORD dst_unused:UNUSED_PAD src0_sel:WORD_1 src1_sel:DWORD
	v_mul_f16_sdwa v51, v16, v29 dst_sel:DWORD dst_unused:UNUSED_PAD src0_sel:WORD_1 src1_sel:DWORD
	v_mul_f16_sdwa v52, v17, v44 dst_sel:DWORD dst_unused:UNUSED_PAD src0_sel:WORD_1 src1_sel:DWORD
	v_mul_f16_sdwa v53, v17, v31 dst_sel:DWORD dst_unused:UNUSED_PAD src0_sel:WORD_1 src1_sel:DWORD
	v_mul_f16_sdwa v54, v18, v45 dst_sel:DWORD dst_unused:UNUSED_PAD src0_sel:WORD_1 src1_sel:DWORD
	v_fmac_f16_e32 v46, v14, v32
	v_fma_f16 v14, v14, v41, -v47
	v_mul_f16_sdwa v41, v38, v19 dst_sel:DWORD dst_unused:UNUSED_PAD src0_sel:DWORD src1_sel:WORD_1
	v_fmac_f16_e32 v48, v15, v12
	v_fma_f16 v15, v15, v42, -v49
	v_mul_f16_sdwa v42, v39, v20 dst_sel:DWORD dst_unused:UNUSED_PAD src0_sel:DWORD src1_sel:WORD_1
	v_fma_f16 v43, v16, v43, -v51
	v_mul_f16_sdwa v49, v40, v21 dst_sel:DWORD dst_unused:UNUSED_PAD src0_sel:DWORD src1_sel:WORD_1
	v_fmac_f16_e32 v50, v16, v29
	v_fmac_f16_e32 v52, v17, v31
	v_mul_f16_sdwa v16, v24, v21 dst_sel:DWORD dst_unused:UNUSED_PAD src0_sel:DWORD src1_sel:WORD_1
	v_mul_f16_sdwa v32, v18, v33 dst_sel:DWORD dst_unused:UNUSED_PAD src0_sel:WORD_1 src1_sel:DWORD
	v_mul_f16_sdwa v12, v28, v19 dst_sel:DWORD dst_unused:UNUSED_PAD src0_sel:DWORD src1_sel:WORD_1
	v_mul_f16_sdwa v47, v30, v20 dst_sel:DWORD dst_unused:UNUSED_PAD src0_sel:DWORD src1_sel:WORD_1
	v_fma_f16 v44, v17, v44, -v53
	v_fmac_f16_e32 v54, v18, v33
	v_fmac_f16_e32 v41, v28, v19
	;; [unrolled: 1-line block ×4, first 2 shown]
	v_fma_f16 v16, v40, v21, -v16
	v_sub_f16_e32 v21, v46, v48
	v_sub_f16_e32 v24, v52, v50
	;; [unrolled: 1-line block ×4, first 2 shown]
	v_fma_f16 v17, v18, v45, -v32
	v_fma_f16 v18, v38, v19, -v12
	;; [unrolled: 1-line block ×3, first 2 shown]
	v_add_f16_e32 v32, v15, v43
	v_add_f16_e32 v39, v14, v44
	v_sub_f16_e32 v40, v15, v14
	v_sub_f16_e32 v45, v43, v44
	;; [unrolled: 1-line block ×3, first 2 shown]
	v_add_f16_e32 v21, v21, v24
	v_sub_f16_e32 v24, v49, v42
	v_add_f16_e32 v56, v29, v30
	v_sub_f16_e32 v29, v41, v54
	v_sub_f16_e32 v30, v42, v49
	v_add_f16_e32 v20, v22, v46
	v_add_f16_e32 v12, v48, v50
	;; [unrolled: 1-line block ×4, first 2 shown]
	v_sub_f16_e32 v33, v14, v15
	v_sub_f16_e32 v38, v44, v43
	v_fma_f16 v32, -0.5, v32, v37
	v_fmac_f16_e32 v37, -0.5, v39
	v_add_f16_e32 v39, v40, v45
	v_sub_f16_e32 v40, v17, v18
	v_sub_f16_e32 v45, v16, v19
	v_add_f16_e32 v24, v53, v24
	v_sub_f16_e32 v53, v18, v17
	v_add_f16_e32 v57, v29, v30
	;; [unrolled: 2-line block ×3, first 2 shown]
	v_add_f16_e32 v47, v11, v54
	v_fma_f16 v55, -0.5, v12, v22
	v_fmac_f16_e32 v22, -0.5, v28
	v_add_f16_e32 v28, v54, v49
	v_add_f16_e32 v33, v33, v38
	;; [unrolled: 1-line block ×6, first 2 shown]
	v_sub_f16_e32 v15, v15, v43
	v_add_f16_e32 v20, v20, v48
	v_fma_f16 v12, -0.5, v51, v11
	v_add_f16_e32 v51, v17, v16
	v_add_f16_e32 v30, v26, v17
	v_sub_f16_e32 v14, v14, v44
	v_sub_f16_e32 v31, v46, v52
	v_add_f16_e32 v47, v47, v41
	v_sub_f16_e32 v46, v48, v50
	v_fmac_f16_e32 v11, -0.5, v28
	v_fma_f16 v28, -0.5, v38, v26
	v_sub_f16_e32 v17, v17, v16
	v_sub_f16_e32 v48, v54, v49
	v_add_f16_e32 v20, v20, v50
	v_fmamk_f16 v53, v15, 0x3b9c, v22
	v_fmac_f16_e32 v22, 0xbb9c, v15
	v_fmac_f16_e32 v26, -0.5, v51
	v_add_f16_e32 v30, v30, v18
	v_sub_f16_e32 v18, v18, v19
	v_sub_f16_e32 v41, v41, v42
	v_fmamk_f16 v50, v14, 0xbb9c, v55
	v_add_f16_e32 v42, v47, v42
	v_fmamk_f16 v47, v31, 0x3b9c, v32
	v_fmamk_f16 v54, v46, 0xbb9c, v37
	v_fmac_f16_e32 v37, 0x3b9c, v46
	v_fmac_f16_e32 v55, 0x3b9c, v14
	;; [unrolled: 1-line block ×3, first 2 shown]
	v_add_f16_e32 v20, v20, v52
	v_fmamk_f16 v52, v17, 0xbb9c, v12
	v_fmac_f16_e32 v53, 0xb8b4, v14
	v_fmac_f16_e32 v22, 0x38b4, v14
	v_fmamk_f16 v14, v48, 0x3b9c, v28
	v_add_f16_e32 v43, v29, v43
	v_add_f16_e32 v19, v30, v19
	v_fmamk_f16 v29, v18, 0x3b9c, v11
	v_fmac_f16_e32 v11, 0xbb9c, v18
	v_fmamk_f16 v30, v41, 0xbb9c, v26
	v_fmac_f16_e32 v26, 0x3b9c, v41
	v_fmac_f16_e32 v12, 0x3b9c, v17
	;; [unrolled: 1-line block ×15, first 2 shown]
	v_add_f16_e32 v15, v43, v44
	v_fmac_f16_e32 v12, 0x38b4, v18
	v_fmac_f16_e32 v28, 0xb8b4, v41
	;; [unrolled: 1-line block ×10, first 2 shown]
	v_add_f16_e32 v31, v42, v49
	v_add_f16_e32 v16, v19, v16
	v_fmac_f16_e32 v52, 0x34f2, v24
	v_fmac_f16_e32 v14, 0x34f2, v40
	;; [unrolled: 1-line block ×8, first 2 shown]
	v_pack_b32_f16 v15, v20, v15
	v_pack_b32_f16 v17, v50, v47
	v_add_nc_u32_e32 v38, 0x7c0, v23
	v_pack_b32_f16 v18, v53, v54
	v_pack_b32_f16 v19, v22, v37
	v_add_nc_u32_e32 v51, 0xfa0, v23
	v_pack_b32_f16 v20, v55, v32
	v_pack_b32_f16 v16, v31, v16
	;; [unrolled: 1-line block ×6, first 2 shown]
	ds_write2_b32 v36, v15, v17 offset1:10
	ds_write2_b32 v36, v18, v19 offset0:20 offset1:30
	ds_write_b32 v36, v20 offset:160
	ds_write2_b32 v34, v16, v14 offset1:10
	ds_write2_b32 v34, v21, v22 offset0:20 offset1:30
	ds_write_b32 v34, v24 offset:160
	s_waitcnt lgkmcnt(0)
	s_barrier
	buffer_gl0_inv
	ds_read2_b32 v[17:18], v23 offset1:250
	ds_read2_b32 v[21:22], v38 offset0:4 offset1:254
	ds_read2_b32 v[19:20], v51 offset1:250
	ds_read_b32 v38, v23 offset:6000
	v_sub_nc_u32_e32 v14, 0, v10
                                        ; implicit-def: $vgpr31
                                        ; implicit-def: $vgpr34
                                        ; implicit-def: $vgpr16
                                        ; implicit-def: $vgpr32
                                        ; implicit-def: $vgpr33
	v_add_nc_u32_e32 v24, v13, v14
                                        ; implicit-def: $vgpr14
	s_and_saveexec_b32 s1, s0
	s_cbranch_execz .LBB0_15
; %bb.14:
	v_add_nc_u32_e32 v11, 0xe60, v23
	v_add_nc_u32_e32 v12, 0x1640, v23
	;; [unrolled: 1-line block ×3, first 2 shown]
	ds_read_b32 v29, v24
	ds_read2_b32 v[13:14], v11 offset0:5 offset1:255
	ds_read2_b32 v[15:16], v12 offset0:1 offset1:251
	;; [unrolled: 1-line block ×3, first 2 shown]
	ds_read_u16 v28, v23 offset:2702
	s_waitcnt lgkmcnt(4)
	v_lshrrev_b32_e32 v30, 16, v29
	s_waitcnt lgkmcnt(3)
	v_lshrrev_b32_e32 v33, 16, v13
	v_lshrrev_b32_e32 v31, 16, v14
	s_waitcnt lgkmcnt(2)
	v_lshrrev_b32_e32 v32, 16, v15
	;; [unrolled: 3-line block ×3, first 2 shown]
.LBB0_15:
	s_or_b32 exec_lo, exec_lo, s1
	v_mul_lo_u16 v27, v27, 41
	v_mov_b32_e32 v37, 6
	v_mov_b32_e32 v36, 0x578
	s_waitcnt lgkmcnt(2)
	v_lshrrev_b32_e32 v47, 16, v21
	s_waitcnt lgkmcnt(1)
	v_lshrrev_b32_e32 v48, 16, v19
	v_lshrrev_b16 v45, 11, v27
	v_lshrrev_b32_e32 v49, 16, v20
	s_waitcnt lgkmcnt(0)
	v_lshrrev_b32_e32 v50, 16, v38
	v_sub_nc_u32_e32 v25, 0, v25
	v_mul_lo_u16 v27, v45, 50
	v_mul_u32_u24_sdwa v45, v45, v36 dst_sel:DWORD dst_unused:UNUSED_PAD src0_sel:WORD_0 src1_sel:DWORD
	v_sub_nc_u16 v46, v0, v27
	v_mul_u32_u24_sdwa v27, v46, v37 dst_sel:DWORD dst_unused:UNUSED_PAD src0_sel:BYTE_0 src1_sel:DWORD
	v_lshlrev_b32_sdwa v35, v35, v46 dst_sel:DWORD dst_unused:UNUSED_PAD src0_sel:DWORD src1_sel:BYTE_0
	v_lshrrev_b32_e32 v46, 16, v22
	v_lshlrev_b32_e32 v27, 2, v27
	v_add3_u32 v35, 0, v45, v35
	s_clause 0x1
	global_load_dwordx4 v[39:42], v27, s[8:9] offset:192
	global_load_dwordx2 v[43:44], v27, s[8:9] offset:208
	v_sub_nc_u32_e32 v27, 0, v9
	v_lshrrev_b32_e32 v9, 16, v18
	s_waitcnt vmcnt(0)
	s_barrier
	buffer_gl0_inv
	v_mul_f16_sdwa v45, v39, v9 dst_sel:DWORD dst_unused:UNUSED_PAD src0_sel:WORD_1 src1_sel:DWORD
	v_mul_f16_sdwa v51, v39, v18 dst_sel:DWORD dst_unused:UNUSED_PAD src0_sel:WORD_1 src1_sel:DWORD
	;; [unrolled: 1-line block ×12, first 2 shown]
	v_fmac_f16_e32 v45, v39, v18
	v_fma_f16 v9, v39, v9, -v51
	v_fmac_f16_e32 v52, v40, v21
	v_fma_f16 v18, v40, v47, -v53
	v_fmac_f16_e32 v56, v42, v19
	v_fmac_f16_e32 v60, v44, v38
	v_fma_f16 v19, v44, v50, -v61
	v_fmac_f16_e32 v58, v43, v20
	v_fma_f16 v20, v43, v49, -v59
	;; [unrolled: 2-line block ×3, first 2 shown]
	v_fma_f16 v22, v42, v48, -v57
	v_add_f16_e32 v38, v45, v60
	v_add_f16_e32 v39, v9, v19
	v_sub_f16_e32 v9, v9, v19
	v_add_f16_e32 v19, v52, v58
	v_add_f16_e32 v41, v18, v20
	v_sub_f16_e32 v40, v45, v60
	v_sub_f16_e32 v42, v52, v58
	;; [unrolled: 1-line block ×3, first 2 shown]
	v_add_f16_e32 v20, v54, v56
	v_add_f16_e32 v43, v21, v22
	v_sub_f16_e32 v44, v56, v54
	v_sub_f16_e32 v21, v22, v21
	v_add_f16_e32 v22, v19, v38
	v_add_f16_e32 v45, v41, v39
	v_sub_f16_e32 v46, v19, v38
	v_sub_f16_e32 v47, v41, v39
	;; [unrolled: 1-line block ×6, first 2 shown]
	v_add_f16_e32 v48, v44, v42
	v_add_f16_e32 v49, v21, v18
	v_sub_f16_e32 v50, v44, v42
	v_sub_f16_e32 v51, v21, v18
	;; [unrolled: 1-line block ×3, first 2 shown]
	v_add_f16_e32 v20, v20, v22
	v_add_f16_e32 v22, v43, v45
	v_sub_f16_e32 v42, v42, v40
	v_sub_f16_e32 v44, v40, v44
	;; [unrolled: 1-line block ×3, first 2 shown]
	v_add_f16_e32 v40, v48, v40
	v_add_f16_e32 v9, v49, v9
	v_mul_f16_e32 v38, 0x3a52, v38
	v_mul_f16_e32 v39, 0x3a52, v39
	v_mul_f16_e32 v43, 0x2b26, v19
	v_mul_f16_e32 v45, 0x2b26, v41
	v_mul_f16_e32 v48, 0x3846, v50
	v_mul_f16_e32 v49, 0x3846, v51
	v_mul_f16_e32 v51, 0xbb00, v18
	v_add_f16_e32 v52, v20, v17
	v_add_f16_sdwa v17, v22, v17 dst_sel:DWORD dst_unused:UNUSED_PAD src0_sel:DWORD src1_sel:WORD_1
	v_mul_f16_e32 v50, 0xbb00, v42
	v_fmamk_f16 v19, v19, 0x2b26, v38
	v_fmamk_f16 v41, v41, 0x2b26, v39
	v_fma_f16 v43, v46, 0x39e0, -v43
	v_fma_f16 v45, v47, 0x39e0, -v45
	v_fma_f16 v38, v46, 0xb9e0, -v38
	v_fma_f16 v39, v47, 0xb9e0, -v39
	v_fmamk_f16 v46, v44, 0xb574, v48
	v_fmamk_f16 v47, v21, 0xb574, v49
	v_fma_f16 v18, v18, 0xbb00, -v49
	v_fma_f16 v21, v21, 0x3574, -v51
	v_fmamk_f16 v20, v20, 0xbcab, v52
	v_fmamk_f16 v22, v22, 0xbcab, v17
	v_fma_f16 v42, v42, 0xbb00, -v48
	v_fma_f16 v44, v44, 0x3574, -v50
	v_fmac_f16_e32 v46, 0xb70e, v40
	v_fmac_f16_e32 v47, 0xb70e, v9
	;; [unrolled: 1-line block ×4, first 2 shown]
	v_pack_b32_f16 v9, v52, v17
	v_add_f16_e32 v17, v19, v20
	v_add_f16_e32 v19, v41, v22
	v_fmac_f16_e32 v42, 0xb70e, v40
	v_fmac_f16_e32 v44, 0xb70e, v40
	v_add_f16_e32 v40, v43, v20
	v_add_f16_e32 v20, v38, v20
	;; [unrolled: 1-line block ×5, first 2 shown]
	v_sub_f16_e32 v41, v19, v46
	v_add_f16_e32 v43, v21, v20
	v_sub_f16_e32 v45, v38, v44
	v_sub_f16_e32 v48, v40, v18
	v_add_f16_e32 v49, v42, v22
	v_add_f16_e32 v18, v18, v40
	v_sub_f16_e32 v22, v22, v42
	v_sub_f16_e32 v20, v20, v21
	v_add_f16_e32 v21, v44, v38
	v_sub_f16_e32 v17, v17, v47
	v_add_f16_e32 v19, v46, v19
	v_pack_b32_f16 v38, v39, v41
	v_pack_b32_f16 v39, v43, v45
	;; [unrolled: 1-line block ×6, first 2 shown]
	ds_write2_b32 v35, v9, v38 offset1:50
	ds_write2_b32 v35, v39, v40 offset0:100 offset1:150
	ds_write2_b32 v35, v18, v20 offset0:200 offset1:250
	ds_write_b32 v35, v17 offset:1200
	s_and_saveexec_b32 s1, s0
	s_cbranch_execz .LBB0_17
; %bb.16:
	v_lshrrev_b16 v9, 1, v2
	v_mov_b32_e32 v17, 0x147b
	v_and_b32_e32 v35, 0xff, v2
	v_mul_u32_u24_sdwa v9, v9, v17 dst_sel:DWORD dst_unused:UNUSED_PAD src0_sel:WORD_0 src1_sel:DWORD
	v_mul_lo_u16 v35, v35, 41
	v_lshrrev_b32_e32 v9, 17, v9
	v_lshrrev_b16 v35, 11, v35
	v_mul_lo_u16 v9, v9, 50
	v_mul_u32_u24_sdwa v35, v35, v36 dst_sel:DWORD dst_unused:UNUSED_PAD src0_sel:WORD_0 src1_sel:DWORD
	v_sub_nc_u16 v9, v2, v9
	v_mul_u32_u24_sdwa v17, v9, v37 dst_sel:DWORD dst_unused:UNUSED_PAD src0_sel:WORD_0 src1_sel:DWORD
	v_mov_b32_e32 v37, 2
	v_lshlrev_b32_e32 v21, 2, v17
	v_lshlrev_b32_sdwa v9, v37, v9 dst_sel:DWORD dst_unused:UNUSED_PAD src0_sel:DWORD src1_sel:WORD_0
	s_clause 0x1
	global_load_dwordx4 v[17:20], v21, s[8:9] offset:192
	global_load_dwordx2 v[21:22], v21, s[8:9] offset:208
	v_add3_u32 v9, 0, v35, v9
	s_waitcnt vmcnt(1)
	v_mul_f16_sdwa v35, v26, v17 dst_sel:DWORD dst_unused:UNUSED_PAD src0_sel:DWORD src1_sel:WORD_1
	s_waitcnt vmcnt(0)
	v_mul_f16_sdwa v36, v34, v22 dst_sel:DWORD dst_unused:UNUSED_PAD src0_sel:DWORD src1_sel:WORD_1
	v_mul_f16_sdwa v39, v28, v18 dst_sel:DWORD dst_unused:UNUSED_PAD src0_sel:DWORD src1_sel:WORD_1
	;; [unrolled: 1-line block ×11, first 2 shown]
	v_fmac_f16_e32 v35, v11, v17
	v_fmac_f16_e32 v36, v16, v22
	;; [unrolled: 1-line block ×4, first 2 shown]
	v_fma_f16 v11, v34, v22, -v41
	v_fma_f16 v12, v26, v17, -v42
	;; [unrolled: 1-line block ×4, first 2 shown]
	v_fmac_f16_e32 v37, v14, v20
	v_fmac_f16_e32 v38, v13, v19
	v_fma_f16 v13, v33, v19, -v43
	v_fma_f16 v14, v31, v20, -v44
	v_add_f16_e32 v20, v12, v11
	v_add_f16_e32 v22, v16, v15
	;; [unrolled: 1-line block ×4, first 2 shown]
	v_sub_f16_e32 v17, v35, v36
	v_sub_f16_e32 v18, v37, v38
	;; [unrolled: 1-line block ×3, first 2 shown]
	v_add_f16_e32 v21, v13, v14
	v_add_f16_e32 v28, v38, v37
	v_sub_f16_e32 v11, v12, v11
	v_sub_f16_e32 v12, v14, v13
	;; [unrolled: 1-line block ×3, first 2 shown]
	v_add_f16_e32 v33, v22, v20
	v_add_f16_e32 v36, v31, v26
	v_sub_f16_e32 v14, v17, v18
	v_sub_f16_e32 v15, v18, v19
	v_add_f16_e32 v16, v18, v19
	v_sub_f16_e32 v18, v20, v21
	v_sub_f16_e32 v32, v21, v22
	;; [unrolled: 1-line block ×6, first 2 shown]
	v_add_f16_e32 v12, v12, v13
	v_sub_f16_e32 v19, v19, v17
	v_add_f16_e32 v21, v21, v33
	v_add_f16_e32 v28, v28, v36
	v_sub_f16_e32 v13, v13, v11
	v_sub_f16_e32 v20, v22, v20
	;; [unrolled: 1-line block ×3, first 2 shown]
	v_mul_f16_e32 v15, 0x3846, v15
	v_add_f16_e32 v16, v16, v17
	v_mul_f16_e32 v17, 0x3a52, v18
	v_mul_f16_e32 v18, 0x2b26, v32
	;; [unrolled: 1-line block ×4, first 2 shown]
	v_add_f16_e32 v11, v12, v11
	v_mul_f16_e32 v12, 0xbb00, v19
	v_add_f16_e32 v30, v30, v21
	v_add_f16_e32 v29, v29, v28
	v_mul_f16_e32 v31, 0x2b26, v35
	v_mul_f16_e32 v34, 0xbb00, v13
	v_fmamk_f16 v36, v14, 0xb574, v15
	v_fmamk_f16 v32, v32, 0x2b26, v17
	;; [unrolled: 1-line block ×4, first 2 shown]
	v_fma_f16 v12, v14, 0x3574, -v12
	v_fma_f16 v14, v20, 0xb9e0, -v17
	v_fma_f16 v18, v20, 0x39e0, -v18
	v_fma_f16 v15, v19, 0xbb00, -v15
	v_fmamk_f16 v20, v21, 0xbcab, v30
	v_fmamk_f16 v21, v28, 0xbcab, v29
	v_fma_f16 v17, v22, 0xb9e0, -v26
	v_fma_f16 v26, v37, 0x3574, -v34
	;; [unrolled: 1-line block ×4, first 2 shown]
	v_fmac_f16_e32 v36, 0xb70e, v16
	v_fmac_f16_e32 v38, 0xb70e, v11
	;; [unrolled: 1-line block ×4, first 2 shown]
	v_add_f16_e32 v16, v32, v20
	v_add_f16_e32 v22, v35, v21
	v_add_f16_e32 v14, v14, v20
	v_fmac_f16_e32 v26, 0xb70e, v11
	v_fmac_f16_e32 v13, 0xb70e, v11
	v_add_f16_e32 v17, v17, v21
	v_add_f16_e32 v18, v18, v20
	;; [unrolled: 1-line block ×5, first 2 shown]
	v_sub_f16_e32 v12, v14, v12
	v_sub_f16_e32 v14, v16, v36
	v_add_f16_e32 v16, v38, v22
	v_pack_b32_f16 v11, v29, v30
	v_sub_f16_e32 v21, v22, v38
	v_sub_f16_e32 v29, v18, v15
	v_add_f16_e32 v15, v15, v18
	v_add_f16_e32 v18, v26, v17
	v_sub_f16_e32 v22, v19, v13
	v_add_f16_e32 v13, v13, v19
	v_sub_f16_e32 v17, v17, v26
	v_pack_b32_f16 v14, v16, v14
	v_pack_b32_f16 v12, v18, v12
	;; [unrolled: 1-line block ×6, first 2 shown]
	ds_write2_b32 v9, v11, v14 offset1:50
	ds_write2_b32 v9, v12, v15 offset0:100 offset1:150
	ds_write2_b32 v9, v13, v16 offset0:200 offset1:250
	ds_write_b32 v9, v17 offset:1200
.LBB0_17:
	s_or_b32 exec_lo, exec_lo, s1
	v_mov_b32_e32 v9, 0
	s_waitcnt lgkmcnt(0)
	s_barrier
	buffer_gl0_inv
	v_add_nc_u32_e32 v22, 0x1200, v23
	v_lshlrev_b64 v[11:12], 2, v[8:9]
	s_add_u32 s1, s8, 0x1b50
	s_addc_u32 s4, s9, 0
	s_mov_b32 s5, exec_lo
	v_add_co_u32 v13, s0, s8, v11
	v_mov_b32_e32 v11, v9
	v_add_co_ci_u32_e64 v14, s0, s9, v12, s0
	v_lshlrev_b64 v[10:11], 2, v[10:11]
	global_load_dwordx4 v[12:15], v[13:14], off offset:1392
	v_add_co_u32 v10, s0, s8, v10
	v_add_co_ci_u32_e64 v11, s0, s9, v11, s0
	global_load_dwordx4 v[16:19], v[10:11], off offset:1392
	v_add_nc_u32_e32 v10, v3, v25
	v_add_nc_u32_e32 v3, 0xd00, v23
	;; [unrolled: 1-line block ×3, first 2 shown]
	ds_read_b32 v28, v23
	ds_read_b32 v29, v24
	ds_read_b32 v30, v23 offset:2100
	ds_read_b32 v1, v10
	ds_read2_b32 v[20:21], v3 offset0:43 offset1:218
	ds_read2_b32 v[25:26], v22 offset0:73 offset1:248
	ds_read_b32 v3, v11
	ds_read_b32 v22, v23 offset:6300
	s_waitcnt vmcnt(0) lgkmcnt(0)
	s_barrier
	buffer_gl0_inv
	v_lshrrev_b32_e32 v27, 16, v28
	v_lshrrev_b32_e32 v37, 16, v1
	;; [unrolled: 1-line block ×10, first 2 shown]
	v_mul_f16_sdwa v40, v12, v35 dst_sel:DWORD dst_unused:UNUSED_PAD src0_sel:WORD_1 src1_sel:DWORD
	v_mul_f16_sdwa v41, v12, v3 dst_sel:DWORD dst_unused:UNUSED_PAD src0_sel:WORD_1 src1_sel:DWORD
	;; [unrolled: 1-line block ×8, first 2 shown]
	v_fmac_f16_e32 v40, v12, v3
	v_fma_f16 v3, v12, v35, -v41
	v_fmac_f16_e32 v42, v13, v1
	v_fma_f16 v1, v13, v37, -v43
	v_fmac_f16_e32 v44, v14, v21
	v_fma_f16 v12, v14, v38, -v45
	v_fmac_f16_e32 v46, v15, v26
	v_fma_f16 v13, v15, v39, -v47
	v_mul_f16_sdwa v14, v16, v32 dst_sel:DWORD dst_unused:UNUSED_PAD src0_sel:WORD_1 src1_sel:DWORD
	v_mul_f16_sdwa v15, v16, v30 dst_sel:DWORD dst_unused:UNUSED_PAD src0_sel:WORD_1 src1_sel:DWORD
	v_mul_f16_sdwa v21, v33, v17 dst_sel:DWORD dst_unused:UNUSED_PAD src0_sel:DWORD src1_sel:WORD_1
	v_mul_f16_sdwa v26, v20, v17 dst_sel:DWORD dst_unused:UNUSED_PAD src0_sel:DWORD src1_sel:WORD_1
	;; [unrolled: 1-line block ×6, first 2 shown]
	v_fmac_f16_e32 v14, v16, v30
	v_fma_f16 v15, v16, v32, -v15
	v_fmac_f16_e32 v21, v20, v17
	v_fma_f16 v16, v33, v17, -v26
	;; [unrolled: 2-line block ×4, first 2 shown]
	v_add_f16_e32 v19, v28, v40
	v_add_f16_e32 v20, v42, v44
	v_sub_f16_e32 v26, v40, v42
	v_sub_f16_e32 v30, v46, v44
	v_add_f16_e32 v32, v40, v46
	v_sub_f16_e32 v33, v42, v40
	v_sub_f16_e32 v34, v44, v46
	v_add_f16_e32 v36, v27, v3
	v_add_f16_e32 v37, v1, v12
	v_sub_f16_e32 v41, v3, v1
	v_sub_f16_e32 v43, v13, v12
	v_add_f16_e32 v45, v3, v13
	v_sub_f16_e32 v22, v3, v13
	v_sub_f16_e32 v25, v1, v12
	;; [unrolled: 1-line block ×6, first 2 shown]
	v_add_f16_e32 v19, v19, v42
	v_fma_f16 v20, -0.5, v20, v28
	v_add_f16_e32 v26, v26, v30
	v_fmac_f16_e32 v28, -0.5, v32
	v_add_f16_e32 v30, v33, v34
	v_add_f16_e32 v1, v36, v1
	v_fma_f16 v32, -0.5, v37, v27
	v_add_f16_e32 v33, v41, v43
	v_add_f16_e32 v34, v29, v14
	v_add_f16_e32 v36, v21, v35
	v_sub_f16_e32 v42, v14, v21
	v_sub_f16_e32 v43, v38, v35
	v_add_f16_e32 v49, v31, v15
	v_add_f16_e32 v50, v16, v17
	v_fmac_f16_e32 v27, -0.5, v45
	v_add_f16_e32 v45, v14, v38
	v_add_f16_e32 v54, v15, v18
	;; [unrolled: 1-line block ×3, first 2 shown]
	v_sub_f16_e32 v37, v15, v18
	v_sub_f16_e32 v41, v16, v17
	;; [unrolled: 1-line block ×7, first 2 shown]
	v_add_f16_e32 v19, v19, v44
	v_fmamk_f16 v44, v22, 0xbb9c, v20
	v_add_f16_e32 v1, v1, v12
	v_fmamk_f16 v12, v39, 0x3b9c, v32
	v_add_f16_e32 v21, v34, v21
	v_fma_f16 v34, -0.5, v36, v29
	v_add_f16_e32 v36, v42, v43
	v_add_f16_e32 v16, v49, v16
	v_fma_f16 v43, -0.5, v50, v31
	v_fmac_f16_e32 v20, 0x3b9c, v22
	v_fmamk_f16 v56, v25, 0x3b9c, v28
	v_fmac_f16_e32 v28, 0xbb9c, v25
	v_fmamk_f16 v57, v40, 0xbb9c, v27
	v_fmac_f16_e32 v29, -0.5, v45
	v_fmac_f16_e32 v31, -0.5, v54
	v_fmac_f16_e32 v27, 0x3b9c, v40
	v_fmac_f16_e32 v32, 0xbb9c, v39
	v_sub_f16_e32 v53, v18, v17
	v_sub_f16_e32 v55, v17, v18
	v_add_f16_e32 v19, v19, v46
	v_fmac_f16_e32 v44, 0xb8b4, v25
	v_add_f16_e32 v1, v1, v13
	v_fmac_f16_e32 v12, 0x38b4, v40
	v_add_f16_e32 v13, v21, v35
	v_fmamk_f16 v21, v37, 0xbb9c, v34
	v_add_f16_e32 v16, v16, v17
	v_fmamk_f16 v17, v14, 0x3b9c, v43
	v_sub_f16_e32 v48, v35, v38
	v_fmac_f16_e32 v20, 0x38b4, v25
	v_fmac_f16_e32 v56, 0xb8b4, v22
	;; [unrolled: 1-line block ×4, first 2 shown]
	v_fmamk_f16 v22, v41, 0x3b9c, v29
	v_fmamk_f16 v25, v51, 0xbb9c, v31
	v_fmac_f16_e32 v27, 0xb8b4, v39
	v_fmac_f16_e32 v29, 0xbb9c, v41
	;; [unrolled: 1-line block ×6, first 2 shown]
	v_add_f16_e32 v45, v52, v53
	v_fmac_f16_e32 v44, 0x34f2, v26
	v_fmac_f16_e32 v12, 0x34f2, v33
	;; [unrolled: 1-line block ×4, first 2 shown]
	v_pack_b32_f16 v1, v19, v1
	v_add_f16_e32 v42, v47, v48
	v_add_f16_e32 v15, v15, v55
	v_fmac_f16_e32 v56, 0x34f2, v30
	v_fmac_f16_e32 v57, 0x34f2, v3
	v_fmac_f16_e32 v22, 0xb8b4, v37
	v_fmac_f16_e32 v25, 0x38b4, v14
	v_fmac_f16_e32 v28, 0x34f2, v30
	v_fmac_f16_e32 v27, 0x34f2, v3
	v_fmac_f16_e32 v29, 0x38b4, v37
	v_fmac_f16_e32 v31, 0xb8b4, v14
	v_fmac_f16_e32 v20, 0x34f2, v26
	v_fmac_f16_e32 v32, 0x34f2, v33
	v_fmac_f16_e32 v34, 0x38b4, v41
	v_fmac_f16_e32 v43, 0xb8b4, v51
	v_add_f16_e32 v3, v13, v38
	v_add_f16_e32 v13, v16, v18
	v_fmac_f16_e32 v21, 0x34f2, v36
	v_fmac_f16_e32 v17, 0x34f2, v45
	ds_write_b32 v23, v1
	v_pack_b32_f16 v1, v44, v12
	v_fmac_f16_e32 v22, 0x34f2, v42
	v_fmac_f16_e32 v25, 0x34f2, v15
	v_pack_b32_f16 v12, v56, v57
	v_fmac_f16_e32 v29, 0x34f2, v42
	v_fmac_f16_e32 v31, 0x34f2, v15
	;; [unrolled: 3-line block ×3, first 2 shown]
	v_pack_b32_f16 v15, v20, v32
	v_pack_b32_f16 v3, v3, v13
	ds_write_b32 v23, v1 offset:1400
	ds_write_b32 v23, v12 offset:2800
	ds_write_b32 v23, v14 offset:4200
	ds_write_b32 v23, v15 offset:5600
	v_pack_b32_f16 v1, v21, v17
	v_pack_b32_f16 v12, v22, v25
	;; [unrolled: 1-line block ×4, first 2 shown]
	ds_write_b32 v24, v3
	ds_write_b32 v24, v1 offset:1400
	ds_write_b32 v24, v12 offset:2800
	;; [unrolled: 1-line block ×4, first 2 shown]
	s_waitcnt lgkmcnt(0)
	s_barrier
	buffer_gl0_inv
	ds_read_b32 v3, v23
	v_sub_nc_u32_e32 v12, 0, v8
                                        ; implicit-def: $vgpr14
                                        ; implicit-def: $vgpr1
                                        ; implicit-def: $vgpr13
	v_cmpx_ne_u32_e32 0, v0
	s_xor_b32 s5, exec_lo, s5
	s_cbranch_execz .LBB0_19
; %bb.18:
	v_mov_b32_e32 v1, v9
	v_lshlrev_b64 v[8:9], 2, v[0:1]
	v_add_co_u32 v8, s0, s1, v8
	v_add_co_ci_u32_e64 v9, s0, s4, v9, s0
	global_load_dword v1, v[8:9], off
	ds_read_b32 v8, v12 offset:7000
	s_waitcnt lgkmcnt(0)
	v_pk_add_f16 v9, v3, v8 neg_lo:[0,1] neg_hi:[0,1]
	v_pk_add_f16 v3, v8, v3
	v_bfi_b32 v8, 0xffff, v9, v3
	v_bfi_b32 v3, 0xffff, v3, v9
	v_pk_mul_f16 v8, v8, 0.5 op_sel_hi:[1,0]
	v_pk_mul_f16 v13, v3, 0.5 op_sel_hi:[1,0]
	s_waitcnt vmcnt(0)
	v_pk_mul_f16 v9, v1, v8 op_sel:[1,0]
	v_pk_mul_f16 v8, v1, v8 op_sel_hi:[0,1]
	v_pk_fma_f16 v1, v3, 0.5, v9 op_sel_hi:[1,0,1]
	v_sub_f16_e32 v3, v13, v9
	v_sub_f16_sdwa v9, v9, v13 dst_sel:DWORD dst_unused:UNUSED_PAD src0_sel:WORD_1 src1_sel:WORD_1
	v_pk_add_f16 v14, v1, v8 op_sel:[0,1] op_sel_hi:[1,0]
	v_pk_add_f16 v15, v1, v8 op_sel:[0,1] op_sel_hi:[1,0] neg_lo:[0,1] neg_hi:[0,1]
	v_sub_f16_sdwa v1, v3, v8 dst_sel:DWORD dst_unused:UNUSED_PAD src0_sel:DWORD src1_sel:WORD_1
	v_sub_f16_e32 v13, v9, v8
                                        ; implicit-def: $vgpr3
	v_bfi_b32 v14, 0xffff, v14, v15
.LBB0_19:
	s_andn2_saveexec_b32 s0, s5
	s_cbranch_execz .LBB0_21
; %bb.20:
	v_mov_b32_e32 v13, 0
	s_waitcnt lgkmcnt(0)
	v_alignbit_b32 v1, s0, v3, 16
	ds_read_u16 v8, v13 offset:3502
	v_pk_add_f16 v9, v1, v3
	v_sub_f16_sdwa v1, v3, v3 dst_sel:DWORD dst_unused:UNUSED_PAD src0_sel:DWORD src1_sel:WORD_1
	v_pack_b32_f16 v14, v9, 0
	s_waitcnt lgkmcnt(0)
	v_xor_b32_e32 v3, 0x8000, v8
	ds_write_b16 v13, v3 offset:3502
.LBB0_21:
	s_or_b32 exec_lo, exec_lo, s0
	s_waitcnt lgkmcnt(0)
	v_mov_b32_e32 v3, 0
	v_lshlrev_b64 v[8:9], 2, v[2:3]
	v_add_nc_u32_e32 v2, 0x20d, v0
	v_add_co_u32 v8, s0, s1, v8
	v_add_co_ci_u32_e64 v9, s0, s4, v9, s0
	global_load_dword v9, v[8:9], off
	v_mov_b32_e32 v8, v3
	v_lshlrev_b64 v[7:8], 2, v[7:8]
	v_add_co_u32 v7, s0, s1, v7
	v_add_co_ci_u32_e64 v8, s0, s4, v8, s0
	global_load_dword v15, v[7:8], off
	v_lshlrev_b64 v[7:8], 2, v[2:3]
	v_add_co_u32 v7, s0, s1, v7
	v_add_co_ci_u32_e64 v8, s0, s4, v8, s0
	global_load_dword v2, v[7:8], off
	v_mov_b32_e32 v7, v3
	v_lshlrev_b64 v[6:7], 2, v[6:7]
	v_add_co_u32 v6, s0, s1, v6
	v_add_co_ci_u32_e64 v7, s0, s4, v7, s0
	global_load_dword v6, v[6:7], off
	ds_write_b16 v12, v13 offset:7002
	ds_write_b32 v23, v14
	ds_write_b16 v12, v1 offset:7000
	ds_read_b32 v1, v24
	ds_read_b32 v7, v12 offset:6300
	s_waitcnt lgkmcnt(0)
	v_pk_add_f16 v8, v1, v7 neg_lo:[0,1] neg_hi:[0,1]
	v_pk_add_f16 v1, v1, v7
	v_bfi_b32 v7, 0xffff, v8, v1
	v_bfi_b32 v1, 0xffff, v1, v8
	v_pk_mul_f16 v7, v7, 0.5 op_sel_hi:[1,0]
	v_pk_mul_f16 v1, v1, 0.5 op_sel_hi:[1,0]
	s_waitcnt vmcnt(3)
	v_pk_fma_f16 v8, v9, v7, v1 op_sel:[1,0,0]
	v_pk_mul_f16 v13, v9, v7 op_sel_hi:[0,1]
	v_pk_fma_f16 v14, v9, v7, v1 op_sel:[1,0,0] neg_lo:[1,0,0] neg_hi:[1,0,0]
	v_pk_fma_f16 v1, v9, v7, v1 op_sel:[1,0,0] neg_lo:[0,0,1] neg_hi:[0,0,1]
	v_pk_add_f16 v7, v8, v13 op_sel:[0,1] op_sel_hi:[1,0]
	v_pk_add_f16 v8, v8, v13 op_sel:[0,1] op_sel_hi:[1,0] neg_lo:[0,1] neg_hi:[0,1]
	v_pk_add_f16 v9, v14, v13 op_sel:[0,1] op_sel_hi:[1,0] neg_lo:[0,1] neg_hi:[0,1]
	;; [unrolled: 1-line block ×3, first 2 shown]
	v_bfi_b32 v7, 0xffff, v7, v8
	v_bfi_b32 v1, 0xffff, v9, v1
	ds_write_b32 v24, v7
	ds_write_b32 v12, v1 offset:6300
	ds_read_b32 v1, v11
	ds_read_b32 v7, v12 offset:5600
	s_waitcnt lgkmcnt(0)
	v_pk_add_f16 v8, v1, v7 neg_lo:[0,1] neg_hi:[0,1]
	v_pk_add_f16 v1, v1, v7
	v_bfi_b32 v7, 0xffff, v8, v1
	v_bfi_b32 v1, 0xffff, v1, v8
	v_pk_mul_f16 v7, v7, 0.5 op_sel_hi:[1,0]
	v_pk_mul_f16 v1, v1, 0.5 op_sel_hi:[1,0]
	s_waitcnt vmcnt(2)
	v_pk_mul_f16 v9, v15, v7 op_sel_hi:[0,1]
	v_pk_fma_f16 v8, v15, v7, v1 op_sel:[1,0,0]
	v_pk_fma_f16 v13, v15, v7, v1 op_sel:[1,0,0] neg_lo:[1,0,0] neg_hi:[1,0,0]
	v_pk_fma_f16 v1, v15, v7, v1 op_sel:[1,0,0] neg_lo:[0,0,1] neg_hi:[0,0,1]
	v_pk_add_f16 v7, v8, v9 op_sel:[0,1] op_sel_hi:[1,0]
	v_pk_add_f16 v8, v8, v9 op_sel:[0,1] op_sel_hi:[1,0] neg_lo:[0,1] neg_hi:[0,1]
	v_pk_add_f16 v13, v13, v9 op_sel:[0,1] op_sel_hi:[1,0] neg_lo:[0,1] neg_hi:[0,1]
	;; [unrolled: 1-line block ×3, first 2 shown]
	v_bfi_b32 v7, 0xffff, v7, v8
	v_bfi_b32 v1, 0xffff, v13, v1
	ds_write_b32 v11, v7
	ds_write_b32 v12, v1 offset:5600
	ds_read_b32 v1, v23 offset:2100
	ds_read_b32 v7, v12 offset:4900
	s_waitcnt lgkmcnt(0)
	v_pk_add_f16 v8, v1, v7 neg_lo:[0,1] neg_hi:[0,1]
	v_pk_add_f16 v1, v1, v7
	v_bfi_b32 v7, 0xffff, v8, v1
	v_bfi_b32 v1, 0xffff, v1, v8
	v_pk_mul_f16 v7, v7, 0.5 op_sel_hi:[1,0]
	v_pk_mul_f16 v1, v1, 0.5 op_sel_hi:[1,0]
	s_waitcnt vmcnt(1)
	v_pk_mul_f16 v9, v2, v7 op_sel_hi:[0,1]
	v_pk_fma_f16 v8, v2, v7, v1 op_sel:[1,0,0]
	v_pk_fma_f16 v11, v2, v7, v1 op_sel:[1,0,0] neg_lo:[1,0,0] neg_hi:[1,0,0]
	v_pk_fma_f16 v1, v2, v7, v1 op_sel:[1,0,0] neg_lo:[0,0,1] neg_hi:[0,0,1]
	v_pk_add_f16 v2, v8, v9 op_sel:[0,1] op_sel_hi:[1,0]
	v_pk_add_f16 v7, v8, v9 op_sel:[0,1] op_sel_hi:[1,0] neg_lo:[0,1] neg_hi:[0,1]
	v_pk_add_f16 v8, v11, v9 op_sel:[0,1] op_sel_hi:[1,0] neg_lo:[0,1] neg_hi:[0,1]
	;; [unrolled: 1-line block ×3, first 2 shown]
	v_bfi_b32 v2, 0xffff, v2, v7
	v_bfi_b32 v1, 0xffff, v8, v1
	ds_write_b32 v23, v2 offset:2100
	ds_write_b32 v12, v1 offset:4900
	ds_read_b32 v1, v10
	ds_read_b32 v2, v12 offset:4200
	s_waitcnt lgkmcnt(0)
	v_pk_add_f16 v7, v1, v2 neg_lo:[0,1] neg_hi:[0,1]
	v_pk_add_f16 v1, v1, v2
	v_bfi_b32 v2, 0xffff, v7, v1
	v_bfi_b32 v1, 0xffff, v1, v7
	v_pk_mul_f16 v2, v2, 0.5 op_sel_hi:[1,0]
	v_pk_mul_f16 v1, v1, 0.5 op_sel_hi:[1,0]
	s_waitcnt vmcnt(0)
	v_pk_mul_f16 v8, v6, v2 op_sel_hi:[0,1]
	v_pk_fma_f16 v7, v6, v2, v1 op_sel:[1,0,0]
	v_pk_fma_f16 v9, v6, v2, v1 op_sel:[1,0,0] neg_lo:[1,0,0] neg_hi:[1,0,0]
	v_pk_fma_f16 v1, v6, v2, v1 op_sel:[1,0,0] neg_lo:[0,0,1] neg_hi:[0,0,1]
	v_pk_add_f16 v2, v7, v8 op_sel:[0,1] op_sel_hi:[1,0]
	v_pk_add_f16 v6, v7, v8 op_sel:[0,1] op_sel_hi:[1,0] neg_lo:[0,1] neg_hi:[0,1]
	v_pk_add_f16 v7, v9, v8 op_sel:[0,1] op_sel_hi:[1,0] neg_lo:[0,1] neg_hi:[0,1]
	;; [unrolled: 1-line block ×3, first 2 shown]
	v_bfi_b32 v2, 0xffff, v2, v6
	v_bfi_b32 v1, 0xffff, v7, v1
	ds_write_b32 v10, v2
	ds_write_b32 v12, v1 offset:4200
	s_waitcnt lgkmcnt(0)
	s_barrier
	buffer_gl0_inv
	s_and_saveexec_b32 s0, vcc_lo
	s_cbranch_execz .LBB0_24
; %bb.22:
	v_add_nc_u32_e32 v2, 0x500, v23
	v_mov_b32_e32 v1, v3
	v_add_nc_u32_e32 v3, 0xa00, v23
	ds_read2_b32 v[6:7], v23 offset1:175
	v_add_nc_u32_e32 v14, 0x1500, v23
	ds_read2_b32 v[10:11], v2 offset0:30 offset1:205
	ds_read2_b32 v[12:13], v3 offset0:60 offset1:235
	v_lshlrev_b64 v[8:9], 2, v[0:1]
	v_add_co_u32 v1, vcc_lo, s2, v4
	v_add_co_ci_u32_e32 v2, vcc_lo, s3, v5, vcc_lo
	v_add_nc_u32_e32 v5, 0x1000, v23
	v_add_co_u32 v3, vcc_lo, v1, v8
	v_add_co_ci_u32_e32 v4, vcc_lo, v2, v9, vcc_lo
	ds_read2_b32 v[8:9], v5 offset0:26 offset1:201
	ds_read2_b32 v[14:15], v14 offset0:56 offset1:231
	v_add_co_u32 v16, vcc_lo, 0x800, v3
	v_add_co_ci_u32_e32 v17, vcc_lo, 0, v4, vcc_lo
	v_add_co_u32 v5, vcc_lo, 0x1000, v3
	s_waitcnt lgkmcnt(4)
	global_store_dword v[3:4], v6, off
	global_store_dword v[3:4], v7, off offset:700
	s_waitcnt lgkmcnt(3)
	global_store_dword v[3:4], v10, off offset:1400
	global_store_dword v[16:17], v11, off offset:52
	s_waitcnt lgkmcnt(2)
	global_store_dword v[16:17], v12, off offset:752
	global_store_dword v[16:17], v13, off offset:1452
	v_add_co_ci_u32_e32 v6, vcc_lo, 0, v4, vcc_lo
	v_add_co_u32 v3, vcc_lo, 0x1800, v3
	v_add_co_ci_u32_e32 v4, vcc_lo, 0, v4, vcc_lo
	v_cmp_eq_u32_e32 vcc_lo, 0xae, v0
	s_waitcnt lgkmcnt(1)
	global_store_dword v[5:6], v8, off offset:104
	global_store_dword v[5:6], v9, off offset:804
	s_waitcnt lgkmcnt(0)
	global_store_dword v[5:6], v14, off offset:1504
	global_store_dword v[3:4], v15, off offset:156
	s_and_b32 exec_lo, exec_lo, vcc_lo
	s_cbranch_execz .LBB0_24
; %bb.23:
	v_mov_b32_e32 v0, 0
	ds_read_b32 v3, v0 offset:7000
	v_add_co_u32 v0, vcc_lo, 0x1800, v1
	v_add_co_ci_u32_e32 v1, vcc_lo, 0, v2, vcc_lo
	s_waitcnt lgkmcnt(0)
	global_store_dword v[0:1], v3, off offset:856
.LBB0_24:
	s_endpgm
	.section	.rodata,"a",@progbits
	.p2align	6, 0x0
	.amdhsa_kernel fft_rtc_back_len1750_factors_2_5_5_7_5_wgs_175_tpt_175_halfLds_half_ip_CI_unitstride_sbrr_R2C_dirReg
		.amdhsa_group_segment_fixed_size 0
		.amdhsa_private_segment_fixed_size 0
		.amdhsa_kernarg_size 88
		.amdhsa_user_sgpr_count 6
		.amdhsa_user_sgpr_private_segment_buffer 1
		.amdhsa_user_sgpr_dispatch_ptr 0
		.amdhsa_user_sgpr_queue_ptr 0
		.amdhsa_user_sgpr_kernarg_segment_ptr 1
		.amdhsa_user_sgpr_dispatch_id 0
		.amdhsa_user_sgpr_flat_scratch_init 0
		.amdhsa_user_sgpr_private_segment_size 0
		.amdhsa_wavefront_size32 1
		.amdhsa_uses_dynamic_stack 0
		.amdhsa_system_sgpr_private_segment_wavefront_offset 0
		.amdhsa_system_sgpr_workgroup_id_x 1
		.amdhsa_system_sgpr_workgroup_id_y 0
		.amdhsa_system_sgpr_workgroup_id_z 0
		.amdhsa_system_sgpr_workgroup_info 0
		.amdhsa_system_vgpr_workitem_id 0
		.amdhsa_next_free_vgpr 62
		.amdhsa_next_free_sgpr 21
		.amdhsa_reserve_vcc 1
		.amdhsa_reserve_flat_scratch 0
		.amdhsa_float_round_mode_32 0
		.amdhsa_float_round_mode_16_64 0
		.amdhsa_float_denorm_mode_32 3
		.amdhsa_float_denorm_mode_16_64 3
		.amdhsa_dx10_clamp 1
		.amdhsa_ieee_mode 1
		.amdhsa_fp16_overflow 0
		.amdhsa_workgroup_processor_mode 1
		.amdhsa_memory_ordered 1
		.amdhsa_forward_progress 0
		.amdhsa_shared_vgpr_count 0
		.amdhsa_exception_fp_ieee_invalid_op 0
		.amdhsa_exception_fp_denorm_src 0
		.amdhsa_exception_fp_ieee_div_zero 0
		.amdhsa_exception_fp_ieee_overflow 0
		.amdhsa_exception_fp_ieee_underflow 0
		.amdhsa_exception_fp_ieee_inexact 0
		.amdhsa_exception_int_div_zero 0
	.end_amdhsa_kernel
	.text
.Lfunc_end0:
	.size	fft_rtc_back_len1750_factors_2_5_5_7_5_wgs_175_tpt_175_halfLds_half_ip_CI_unitstride_sbrr_R2C_dirReg, .Lfunc_end0-fft_rtc_back_len1750_factors_2_5_5_7_5_wgs_175_tpt_175_halfLds_half_ip_CI_unitstride_sbrr_R2C_dirReg
                                        ; -- End function
	.section	.AMDGPU.csdata,"",@progbits
; Kernel info:
; codeLenInByte = 9152
; NumSgprs: 23
; NumVgprs: 62
; ScratchSize: 0
; MemoryBound: 0
; FloatMode: 240
; IeeeMode: 1
; LDSByteSize: 0 bytes/workgroup (compile time only)
; SGPRBlocks: 2
; VGPRBlocks: 7
; NumSGPRsForWavesPerEU: 23
; NumVGPRsForWavesPerEU: 62
; Occupancy: 15
; WaveLimiterHint : 1
; COMPUTE_PGM_RSRC2:SCRATCH_EN: 0
; COMPUTE_PGM_RSRC2:USER_SGPR: 6
; COMPUTE_PGM_RSRC2:TRAP_HANDLER: 0
; COMPUTE_PGM_RSRC2:TGID_X_EN: 1
; COMPUTE_PGM_RSRC2:TGID_Y_EN: 0
; COMPUTE_PGM_RSRC2:TGID_Z_EN: 0
; COMPUTE_PGM_RSRC2:TIDIG_COMP_CNT: 0
	.text
	.p2alignl 6, 3214868480
	.fill 48, 4, 3214868480
	.type	__hip_cuid_87b29731e6abd84f,@object ; @__hip_cuid_87b29731e6abd84f
	.section	.bss,"aw",@nobits
	.globl	__hip_cuid_87b29731e6abd84f
__hip_cuid_87b29731e6abd84f:
	.byte	0                               ; 0x0
	.size	__hip_cuid_87b29731e6abd84f, 1

	.ident	"AMD clang version 19.0.0git (https://github.com/RadeonOpenCompute/llvm-project roc-6.4.0 25133 c7fe45cf4b819c5991fe208aaa96edf142730f1d)"
	.section	".note.GNU-stack","",@progbits
	.addrsig
	.addrsig_sym __hip_cuid_87b29731e6abd84f
	.amdgpu_metadata
---
amdhsa.kernels:
  - .args:
      - .actual_access:  read_only
        .address_space:  global
        .offset:         0
        .size:           8
        .value_kind:     global_buffer
      - .offset:         8
        .size:           8
        .value_kind:     by_value
      - .actual_access:  read_only
        .address_space:  global
        .offset:         16
        .size:           8
        .value_kind:     global_buffer
      - .actual_access:  read_only
        .address_space:  global
        .offset:         24
        .size:           8
        .value_kind:     global_buffer
      - .offset:         32
        .size:           8
        .value_kind:     by_value
      - .actual_access:  read_only
        .address_space:  global
        .offset:         40
        .size:           8
        .value_kind:     global_buffer
      - .actual_access:  read_only
        .address_space:  global
        .offset:         48
        .size:           8
        .value_kind:     global_buffer
      - .offset:         56
        .size:           4
        .value_kind:     by_value
      - .actual_access:  read_only
        .address_space:  global
        .offset:         64
        .size:           8
        .value_kind:     global_buffer
      - .actual_access:  read_only
        .address_space:  global
        .offset:         72
        .size:           8
        .value_kind:     global_buffer
      - .address_space:  global
        .offset:         80
        .size:           8
        .value_kind:     global_buffer
    .group_segment_fixed_size: 0
    .kernarg_segment_align: 8
    .kernarg_segment_size: 88
    .language:       OpenCL C
    .language_version:
      - 2
      - 0
    .max_flat_workgroup_size: 175
    .name:           fft_rtc_back_len1750_factors_2_5_5_7_5_wgs_175_tpt_175_halfLds_half_ip_CI_unitstride_sbrr_R2C_dirReg
    .private_segment_fixed_size: 0
    .sgpr_count:     23
    .sgpr_spill_count: 0
    .symbol:         fft_rtc_back_len1750_factors_2_5_5_7_5_wgs_175_tpt_175_halfLds_half_ip_CI_unitstride_sbrr_R2C_dirReg.kd
    .uniform_work_group_size: 1
    .uses_dynamic_stack: false
    .vgpr_count:     62
    .vgpr_spill_count: 0
    .wavefront_size: 32
    .workgroup_processor_mode: 1
amdhsa.target:   amdgcn-amd-amdhsa--gfx1030
amdhsa.version:
  - 1
  - 2
...

	.end_amdgpu_metadata
